;; amdgpu-corpus repo=ROCm/rocFFT kind=compiled arch=gfx1030 opt=O3
	.text
	.amdgcn_target "amdgcn-amd-amdhsa--gfx1030"
	.amdhsa_code_object_version 6
	.protected	bluestein_single_back_len1215_dim1_sp_op_CI_CI ; -- Begin function bluestein_single_back_len1215_dim1_sp_op_CI_CI
	.globl	bluestein_single_back_len1215_dim1_sp_op_CI_CI
	.p2align	8
	.type	bluestein_single_back_len1215_dim1_sp_op_CI_CI,@function
bluestein_single_back_len1215_dim1_sp_op_CI_CI: ; @bluestein_single_back_len1215_dim1_sp_op_CI_CI
; %bb.0:
	s_load_dwordx4 s[12:15], s[4:5], 0x28
	v_mul_u32_u24_e32 v1, 0x10e, v0
	v_mov_b32_e32 v41, 0
	s_mov_b32 s0, exec_lo
	v_lshrrev_b32_e32 v1, 16, v1
	v_add_nc_u32_e32 v40, s6, v1
	s_waitcnt lgkmcnt(0)
	v_cmpx_gt_u64_e64 s[12:13], v[40:41]
	s_cbranch_execz .LBB0_42
; %bb.1:
	s_clause 0x1
	s_load_dwordx4 s[8:11], s[4:5], 0x18
	s_load_dwordx4 s[0:3], s[4:5], 0x0
	v_mul_lo_u16 v1, 0xf3, v1
	s_load_dwordx2 s[4:5], s[4:5], 0x38
	v_sub_nc_u16 v18, v0, v1
	v_and_b32_e32 v63, 0xffff, v18
	v_lshlrev_b32_e32 v64, 3, v63
	s_waitcnt lgkmcnt(0)
	s_load_dwordx4 s[16:19], s[8:9], 0x0
	s_clause 0x1
	global_load_dwordx2 v[41:42], v64, s[0:1]
	global_load_dwordx2 v[43:44], v64, s[0:1] offset:1944
	v_add_co_u32 v65, s6, s0, v64
	v_add_co_ci_u32_e64 v66, null, s1, 0, s6
	v_add_nc_u32_e32 v14, 0xf00, v64
	s_waitcnt lgkmcnt(0)
	v_mad_u64_u32 v[0:1], null, s18, v40, 0
	v_mad_u64_u32 v[2:3], null, s16, v63, 0
	s_mul_i32 s0, s17, 0x798
	s_mul_hi_u32 s1, s16, 0x798
	s_mul_i32 s6, s16, 0x798
	s_add_i32 s1, s1, s0
	v_mad_u64_u32 v[4:5], null, s19, v40, v[1:2]
	v_mad_u64_u32 v[5:6], null, s17, v63, v[3:4]
	v_mov_b32_e32 v1, v4
	v_add_co_u32 v6, vcc_lo, 0x800, v65
	v_add_co_ci_u32_e32 v7, vcc_lo, 0, v66, vcc_lo
	v_add_co_u32 v8, vcc_lo, 0x1000, v65
	v_mov_b32_e32 v3, v5
	v_lshlrev_b64 v[0:1], 3, v[0:1]
	v_add_co_ci_u32_e32 v9, vcc_lo, 0, v66, vcc_lo
	v_add_co_u32 v4, vcc_lo, 0x1800, v65
	v_add_co_ci_u32_e32 v5, vcc_lo, 0, v66, vcc_lo
	v_lshlrev_b64 v[2:3], 3, v[2:3]
	v_add_co_u32 v0, vcc_lo, s14, v0
	v_add_co_ci_u32_e32 v1, vcc_lo, s15, v1, vcc_lo
	global_load_dwordx2 v[45:46], v[6:7], off offset:1840
	v_add_co_u32 v0, vcc_lo, v0, v2
	v_add_co_ci_u32_e32 v1, vcc_lo, v1, v3, vcc_lo
	v_add_co_u32 v2, vcc_lo, v0, s6
	v_add_co_ci_u32_e32 v3, vcc_lo, s1, v1, vcc_lo
	;; [unrolled: 2-line block ×3, first 2 shown]
	s_clause 0x1
	global_load_dwordx2 v[0:1], v[0:1], off
	global_load_dwordx2 v[2:3], v[2:3], off
	v_add_co_u32 v10, vcc_lo, v6, s6
	v_add_co_ci_u32_e32 v11, vcc_lo, s1, v7, vcc_lo
	global_load_dwordx2 v[6:7], v[6:7], off
	v_add_co_u32 v12, vcc_lo, v10, s6
	v_add_co_ci_u32_e32 v13, vcc_lo, s1, v11, vcc_lo
	global_load_dwordx2 v[47:48], v[8:9], off offset:1736
	global_load_dwordx2 v[8:9], v[10:11], off
	global_load_dwordx2 v[49:50], v[4:5], off offset:1632
	global_load_dwordx2 v[4:5], v[12:13], off
	s_load_dwordx4 s[8:11], s[10:11], 0x0
	v_cmp_gt_u16_e32 vcc_lo, 0xa2, v18
	s_waitcnt vmcnt(6)
	v_mul_f32_e32 v10, v1, v42
	v_mul_f32_e32 v11, v0, v42
	s_waitcnt vmcnt(5)
	v_mul_f32_e32 v12, v3, v44
	v_mul_f32_e32 v13, v2, v44
	v_fmac_f32_e32 v10, v0, v41
	s_waitcnt vmcnt(4)
	v_mul_f32_e32 v0, v7, v46
	v_fma_f32 v11, v1, v41, -v11
	v_fmac_f32_e32 v12, v2, v43
	v_fma_f32 v13, v3, v43, -v13
	v_mul_f32_e32 v1, v6, v46
	s_waitcnt vmcnt(2)
	v_mul_f32_e32 v2, v9, v48
	v_mul_f32_e32 v3, v8, v48
	v_fmac_f32_e32 v0, v6, v45
	s_waitcnt vmcnt(0)
	v_mul_f32_e32 v6, v5, v50
	v_mul_f32_e32 v15, v4, v50
	v_fma_f32 v1, v7, v45, -v1
	v_fmac_f32_e32 v2, v8, v47
	v_fma_f32 v3, v9, v47, -v3
	v_fmac_f32_e32 v6, v4, v49
	v_fma_f32 v7, v5, v49, -v15
	ds_write2_b64 v64, v[10:11], v[12:13] offset1:243
	ds_write2_b64 v14, v[0:1], v[2:3] offset0:6 offset1:249
	ds_write_b64 v64, v[6:7] offset:7776
	s_waitcnt lgkmcnt(0)
	s_barrier
	buffer_gl0_inv
	ds_read2_b64 v[1:4], v64 offset1:243
	ds_read2_b64 v[8:11], v14 offset0:6 offset1:249
	ds_read_b64 v[5:6], v64 offset:7776
	v_mov_b32_e32 v0, 3
	v_mul_lo_u16 v7, v18, 5
	s_waitcnt lgkmcnt(0)
	s_barrier
	buffer_gl0_inv
                                        ; implicit-def: $vgpr18
	v_lshlrev_b32_sdwa v67, v0, v7 dst_sel:DWORD dst_unused:UNUSED_PAD src0_sel:DWORD src1_sel:WORD_0
	v_add_f32_e32 v7, v1, v3
	v_add_f32_e32 v12, v8, v10
	v_sub_f32_e32 v15, v3, v8
	v_sub_f32_e32 v16, v5, v10
	;; [unrolled: 1-line block ×4, first 2 shown]
	v_add_f32_e32 v21, v2, v4
	v_add_f32_e32 v22, v9, v11
	;; [unrolled: 1-line block ×4, first 2 shown]
	v_sub_f32_e32 v13, v4, v6
	v_sub_f32_e32 v14, v9, v11
	;; [unrolled: 1-line block ×6, first 2 shown]
	v_add_f32_e32 v7, v7, v8
	v_fma_f32 v8, -0.5, v12, v1
	v_add_f32_e32 v12, v15, v16
	v_add_f32_e32 v15, v19, v20
	;; [unrolled: 1-line block ×3, first 2 shown]
	v_fma_f32 v9, -0.5, v22, v2
	v_sub_f32_e32 v25, v6, v11
	v_sub_f32_e32 v27, v11, v6
	v_fma_f32 v16, -0.5, v17, v1
	v_fma_f32 v17, -0.5, v26, v2
	v_fmamk_f32 v1, v13, 0x3f737871, v8
	v_fmamk_f32 v2, v23, 0xbf737871, v9
	v_add_f32_e32 v20, v3, v25
	v_add_f32_e32 v21, v4, v27
	v_fmamk_f32 v3, v14, 0xbf737871, v16
	v_fmac_f32_e32 v16, 0x3f737871, v14
	v_fmamk_f32 v4, v24, 0x3f737871, v17
	v_fmac_f32_e32 v17, 0xbf737871, v24
	v_fmac_f32_e32 v8, 0xbf737871, v13
	;; [unrolled: 1-line block ×3, first 2 shown]
	v_add_f32_e32 v7, v7, v10
	v_add_f32_e32 v10, v19, v11
	v_fmac_f32_e32 v1, 0x3f167918, v14
	v_fmac_f32_e32 v2, 0xbf167918, v24
	;; [unrolled: 1-line block ×8, first 2 shown]
	v_add_f32_e32 v5, v7, v5
	v_add_f32_e32 v6, v10, v6
	v_fmac_f32_e32 v1, 0x3e9e377a, v12
	v_fmac_f32_e32 v2, 0x3e9e377a, v20
	;; [unrolled: 1-line block ×8, first 2 shown]
	ds_write2_b64 v67, v[5:6], v[1:2] offset1:1
	ds_write2_b64 v67, v[3:4], v[16:17] offset0:2 offset1:3
	ds_write_b64 v67, v[8:9] offset:32
	s_waitcnt lgkmcnt(0)
	s_barrier
	buffer_gl0_inv
	ds_read_b64 v[10:11], v64
	ds_read_b64 v[14:15], v64 offset:3240
	ds_read_b64 v[12:13], v64 offset:6480
	s_and_saveexec_b32 s0, vcc_lo
	s_cbranch_execz .LBB0_3
; %bb.2:
	ds_read_b64 v[16:17], v64 offset:1944
	ds_read_b64 v[8:9], v64 offset:5184
	;; [unrolled: 1-line block ×3, first 2 shown]
.LBB0_3:
	s_or_b32 exec_lo, exec_lo, s0
	v_and_b32_e32 v36, 0xff, v63
	v_mov_b32_e32 v1, 0xcccd
	v_add_co_u32 v77, s0, 0xf3, v63
	v_mov_b32_e32 v22, 15
	v_mul_lo_u16 v2, 0xcd, v36
	v_add_co_ci_u32_e64 v78, null, 0, 0, s0
	v_mul_u32_u24_sdwa v1, v77, v1 dst_sel:DWORD dst_unused:UNUSED_PAD src0_sel:WORD_0 src1_sel:DWORD
	v_lshrrev_b16 v20, 10, v2
	v_lshrrev_b32_e32 v68, 18, v1
	v_mul_lo_u16 v1, v20, 5
	v_mul_u32_u24_sdwa v20, v20, v22 dst_sel:DWORD dst_unused:UNUSED_PAD src0_sel:WORD_0 src1_sel:DWORD
	v_mul_lo_u16 v2, v68, 5
	v_sub_nc_u16 v1, v63, v1
	v_sub_nc_u16 v69, v77, v2
	v_and_b32_e32 v21, 0xff, v1
	v_lshlrev_b16 v1, 1, v69
	v_lshlrev_b32_e32 v2, 4, v21
	v_add_lshl_u32 v70, v20, v21, 3
	v_lshlrev_b32_sdwa v0, v0, v1 dst_sel:DWORD dst_unused:UNUSED_PAD src0_sel:DWORD src1_sel:WORD_0
	s_clause 0x1
	global_load_dwordx4 v[4:7], v2, s[2:3]
	global_load_dwordx4 v[0:3], v0, s[2:3]
	s_waitcnt vmcnt(0) lgkmcnt(0)
	s_barrier
	buffer_gl0_inv
	v_mul_f32_e32 v20, v15, v5
	v_mul_f32_e32 v21, v14, v5
	v_mul_f32_e32 v22, v13, v7
	v_mul_f32_e32 v23, v12, v7
	v_mul_f32_e32 v24, v9, v1
	v_mul_f32_e32 v25, v8, v1
	v_mul_f32_e32 v26, v19, v3
	v_mul_f32_e32 v27, v18, v3
	v_fma_f32 v14, v14, v4, -v20
	v_fmac_f32_e32 v21, v15, v4
	v_fma_f32 v12, v12, v6, -v22
	v_fmac_f32_e32 v23, v13, v6
	;; [unrolled: 2-line block ×4, first 2 shown]
	v_add_f32_e32 v15, v14, v12
	v_add_f32_e32 v20, v21, v23
	;; [unrolled: 1-line block ×5, first 2 shown]
	v_sub_f32_e32 v18, v21, v23
	v_add_f32_e32 v19, v11, v21
	v_sub_f32_e32 v14, v14, v12
	v_add_f32_e32 v21, v16, v8
	;; [unrolled: 2-line block ×3, first 2 shown]
	v_sub_f32_e32 v30, v8, v13
	v_fma_f32 v10, -0.5, v15, v10
	v_fmac_f32_e32 v11, -0.5, v20
	v_fmac_f32_e32 v16, -0.5, v22
	;; [unrolled: 1-line block ×3, first 2 shown]
	v_add_f32_e32 v8, v9, v12
	v_add_f32_e32 v9, v19, v23
	;; [unrolled: 1-line block ×4, first 2 shown]
	v_fmamk_f32 v12, v18, 0x3f5db3d7, v10
	v_fmamk_f32 v13, v14, 0xbf5db3d7, v11
	;; [unrolled: 1-line block ×3, first 2 shown]
	v_fmac_f32_e32 v16, 0xbf5db3d7, v26
	v_fmamk_f32 v21, v30, 0xbf5db3d7, v17
	v_fmac_f32_e32 v17, 0x3f5db3d7, v30
	v_fmac_f32_e32 v10, 0xbf5db3d7, v18
	v_fmac_f32_e32 v11, 0x3f5db3d7, v14
	ds_write2_b64 v70, v[8:9], v[12:13] offset1:5
	ds_write_b64 v70, v[10:11] offset:80
	s_and_saveexec_b32 s0, vcc_lo
	s_cbranch_execz .LBB0_5
; %bb.4:
	v_mad_u16 v8, v68, 15, v69
	v_mov_b32_e32 v9, 3
	v_lshlrev_b32_sdwa v8, v9, v8 dst_sel:DWORD dst_unused:UNUSED_PAD src0_sel:DWORD src1_sel:WORD_0
	ds_write2_b64 v8, v[24:25], v[20:21] offset1:5
	ds_write_b64 v8, v[16:17] offset:80
.LBB0_5:
	s_or_b32 exec_lo, exec_lo, s0
	s_waitcnt lgkmcnt(0)
	s_barrier
	buffer_gl0_inv
	ds_read_b64 v[18:19], v64
	ds_read_b64 v[26:27], v64 offset:3240
	ds_read_b64 v[22:23], v64 offset:6480
	s_and_saveexec_b32 s0, vcc_lo
	s_cbranch_execz .LBB0_7
; %bb.6:
	ds_read_b64 v[24:25], v64 offset:1944
	ds_read_b64 v[20:21], v64 offset:5184
	ds_read_b64 v[16:17], v64 offset:8424
.LBB0_7:
	s_or_b32 exec_lo, exec_lo, s0
	v_mov_b32_e32 v8, 0x8889
	v_mul_lo_u16 v9, 0x89, v36
	v_mov_b32_e32 v32, 45
	v_mul_u32_u24_sdwa v8, v77, v8 dst_sel:DWORD dst_unused:UNUSED_PAD src0_sel:WORD_0 src1_sel:DWORD
	v_lshrrev_b16 v28, 11, v9
	v_lshrrev_b32_e32 v30, 19, v8
	v_mul_lo_u16 v8, v28, 15
	v_mul_u32_u24_sdwa v28, v28, v32 dst_sel:DWORD dst_unused:UNUSED_PAD src0_sel:WORD_0 src1_sel:DWORD
	v_mul_lo_u16 v9, v30, 15
	v_sub_nc_u16 v8, v63, v8
	v_sub_nc_u16 v31, v77, v9
	v_and_b32_e32 v29, 0xff, v8
	v_lshlrev_b16 v8, 4, v31
	v_lshlrev_b32_e32 v9, 4, v29
	v_add_lshl_u32 v71, v28, v29, 3
	v_mad_u16 v72, v30, 45, v31
	v_and_b32_e32 v8, 0xffff, v8
	global_load_dwordx4 v[12:15], v9, s[2:3] offset:80
	v_add_co_u32 v8, s0, s2, v8
	v_add_co_ci_u32_e64 v9, null, s3, 0, s0
	global_load_dwordx4 v[8:11], v[8:9], off offset:80
	s_waitcnt vmcnt(0) lgkmcnt(0)
	s_barrier
	buffer_gl0_inv
	v_mul_f32_e32 v28, v27, v13
	v_mul_f32_e32 v29, v26, v13
	;; [unrolled: 1-line block ×4, first 2 shown]
	v_fma_f32 v26, v26, v12, -v28
	v_fmac_f32_e32 v29, v27, v12
	v_fmac_f32_e32 v33, v23, v14
	v_fma_f32 v22, v22, v14, -v32
	v_add_f32_e32 v32, v18, v26
	v_mul_f32_e32 v23, v21, v9
	v_mul_f32_e32 v27, v20, v9
	;; [unrolled: 1-line block ×4, first 2 shown]
	v_sub_f32_e32 v37, v29, v33
	v_add_f32_e32 v38, v19, v29
	v_add_f32_e32 v29, v29, v33
	v_fma_f32 v23, v20, v8, -v23
	v_fmac_f32_e32 v27, v21, v8
	v_fma_f32 v28, v16, v10, -v28
	v_fmac_f32_e32 v34, v17, v10
	v_add_f32_e32 v35, v26, v22
	v_sub_f32_e32 v26, v26, v22
	v_fmac_f32_e32 v19, -0.5, v29
	v_add_f32_e32 v16, v32, v22
	v_add_f32_e32 v22, v23, v28
	;; [unrolled: 1-line block ×3, first 2 shown]
	v_fma_f32 v18, -0.5, v35, v18
	v_fmamk_f32 v21, v26, 0xbf5db3d7, v19
	v_fmac_f32_e32 v19, 0x3f5db3d7, v26
	v_add_f32_e32 v26, v24, v23
	v_sub_f32_e32 v35, v27, v34
	v_add_f32_e32 v27, v25, v27
	v_fmac_f32_e32 v24, -0.5, v22
	v_sub_f32_e32 v22, v23, v28
	v_fmac_f32_e32 v25, -0.5, v29
	v_add_f32_e32 v17, v38, v33
	v_fmamk_f32 v20, v37, 0x3f5db3d7, v18
	v_add_f32_e32 v32, v26, v28
	v_add_f32_e32 v33, v27, v34
	v_fmamk_f32 v28, v35, 0x3f5db3d7, v24
	v_fmac_f32_e32 v24, 0xbf5db3d7, v35
	v_fmamk_f32 v29, v22, 0xbf5db3d7, v25
	v_fmac_f32_e32 v25, 0x3f5db3d7, v22
	v_fmac_f32_e32 v18, 0xbf5db3d7, v37
	ds_write2_b64 v71, v[16:17], v[20:21] offset1:15
	ds_write_b64 v71, v[18:19] offset:240
	s_and_saveexec_b32 s0, vcc_lo
	s_cbranch_execz .LBB0_9
; %bb.8:
	v_mov_b32_e32 v16, 3
	v_lshlrev_b32_sdwa v16, v16, v72 dst_sel:DWORD dst_unused:UNUSED_PAD src0_sel:DWORD src1_sel:WORD_0
	ds_write2_b64 v16, v[32:33], v[28:29] offset1:15
	ds_write_b64 v16, v[24:25] offset:240
.LBB0_9:
	s_or_b32 exec_lo, exec_lo, s0
	s_waitcnt lgkmcnt(0)
	s_barrier
	buffer_gl0_inv
	ds_read_b64 v[26:27], v64
	ds_read_b64 v[34:35], v64 offset:3240
	ds_read_b64 v[30:31], v64 offset:6480
	s_and_saveexec_b32 s0, vcc_lo
	s_cbranch_execz .LBB0_11
; %bb.10:
	ds_read_b64 v[32:33], v64 offset:1944
	ds_read_b64 v[28:29], v64 offset:5184
	;; [unrolled: 1-line block ×3, first 2 shown]
.LBB0_11:
	s_or_b32 exec_lo, exec_lo, s0
	v_mul_lo_u16 v16, 0x6d, v36
	v_mov_b32_e32 v18, 0x2d83
	v_mov_b32_e32 v51, 0x87
	v_lshrrev_b16 v16, 8, v16
	v_mul_u32_u24_sdwa v18, v77, v18 dst_sel:DWORD dst_unused:UNUSED_PAD src0_sel:WORD_0 src1_sel:DWORD
	v_sub_nc_u16 v17, v63, v16
	v_lshrrev_b32_e32 v36, 19, v18
	v_lshrrev_b16 v17, 1, v17
	v_and_b32_e32 v17, 0x7f, v17
	v_add_nc_u16 v16, v17, v16
	v_lshrrev_b16 v37, 5, v16
	v_mul_lo_u16 v16, v36, 45
	v_mul_lo_u16 v17, v37, 45
	v_sub_nc_u16 v38, v77, v16
	v_mul_u32_u24_sdwa v37, v37, v51 dst_sel:DWORD dst_unused:UNUSED_PAD src0_sel:WORD_0 src1_sel:DWORD
	v_sub_nc_u16 v16, v63, v17
	v_lshlrev_b16 v17, 4, v38
	v_mad_u16 v73, 0x87, v36, v38
	v_and_b32_e32 v39, 0xff, v16
	v_and_b32_e32 v16, 0xffff, v17
	v_lshlrev_b32_e32 v18, 4, v39
	v_add_co_u32 v16, s0, s2, v16
	v_add_co_ci_u32_e64 v17, null, s3, 0, s0
	v_add_lshl_u32 v74, v37, v39, 3
	s_clause 0x1
	global_load_dwordx4 v[20:23], v18, s[2:3] offset:320
	global_load_dwordx4 v[16:19], v[16:17], off offset:320
	s_waitcnt vmcnt(0) lgkmcnt(0)
	s_barrier
	buffer_gl0_inv
	v_mul_f32_e32 v36, v35, v21
	v_mul_f32_e32 v37, v34, v21
	;; [unrolled: 1-line block ×8, first 2 shown]
	v_fma_f32 v34, v34, v20, -v36
	v_fmac_f32_e32 v37, v35, v20
	v_fma_f32 v30, v30, v22, -v38
	v_fmac_f32_e32 v39, v31, v22
	;; [unrolled: 2-line block ×4, first 2 shown]
	v_add_f32_e32 v25, v34, v30
	v_add_f32_e32 v36, v37, v39
	;; [unrolled: 1-line block ×5, first 2 shown]
	v_sub_f32_e32 v31, v37, v39
	v_add_f32_e32 v35, v27, v37
	v_sub_f32_e32 v34, v34, v30
	v_add_f32_e32 v37, v32, v28
	v_sub_f32_e32 v53, v52, v54
	v_add_f32_e32 v55, v33, v52
	v_sub_f32_e32 v57, v28, v29
	v_fma_f32 v26, -0.5, v25, v26
	v_fmac_f32_e32 v27, -0.5, v36
	v_fmac_f32_e32 v32, -0.5, v38
	;; [unrolled: 1-line block ×3, first 2 shown]
	v_add_f32_e32 v24, v24, v30
	v_add_f32_e32 v25, v35, v39
	;; [unrolled: 1-line block ×4, first 2 shown]
	v_fmamk_f32 v28, v31, 0x3f5db3d7, v26
	v_fmamk_f32 v29, v34, 0xbf5db3d7, v27
	;; [unrolled: 1-line block ×3, first 2 shown]
	v_fmac_f32_e32 v32, 0xbf5db3d7, v53
	v_fmamk_f32 v37, v57, 0xbf5db3d7, v33
	v_fmac_f32_e32 v33, 0x3f5db3d7, v57
	v_fmac_f32_e32 v26, 0xbf5db3d7, v31
	v_fmac_f32_e32 v27, 0x3f5db3d7, v34
	ds_write2_b64 v74, v[24:25], v[28:29] offset1:45
	ds_write_b64 v74, v[26:27] offset:720
	s_and_saveexec_b32 s0, vcc_lo
	s_cbranch_execz .LBB0_13
; %bb.12:
	v_mov_b32_e32 v24, 3
	v_lshlrev_b32_sdwa v24, v24, v73 dst_sel:DWORD dst_unused:UNUSED_PAD src0_sel:DWORD src1_sel:WORD_0
	ds_write2_b64 v24, v[51:52], v[36:37] offset1:45
	ds_write_b64 v24, v[32:33] offset:720
.LBB0_13:
	s_or_b32 exec_lo, exec_lo, s0
	s_waitcnt lgkmcnt(0)
	s_barrier
	buffer_gl0_inv
	ds_read_b64 v[34:35], v64
	ds_read_b64 v[53:54], v64 offset:3240
	ds_read_b64 v[38:39], v64 offset:6480
	s_and_saveexec_b32 s0, vcc_lo
	s_cbranch_execz .LBB0_15
; %bb.14:
	ds_read_b64 v[51:52], v64 offset:1944
	ds_read_b64 v[36:37], v64 offset:5184
	;; [unrolled: 1-line block ×3, first 2 shown]
.LBB0_15:
	s_or_b32 exec_lo, exec_lo, s0
	v_add_co_u32 v24, s0, 0xffffff79, v63
	v_add_co_ci_u32_e64 v25, null, 0, -1, s0
	v_mov_b32_e32 v26, 0x795d
	v_cmp_gt_u16_e64 s0, 0x87, v63
	v_cndmask_b32_e64 v56, v25, 0, s0
	v_mul_u32_u24_sdwa v25, v77, v26 dst_sel:DWORD dst_unused:UNUSED_PAD src0_sel:WORD_0 src1_sel:DWORD
	v_cndmask_b32_e64 v55, v24, v63, s0
	v_lshrrev_b32_e32 v59, 22, v25
	v_lshlrev_b64 v[24:25], 4, v[55:56]
	v_mul_lo_u16 v26, 0x87, v59
	v_add_co_u32 v24, s0, s2, v24
	v_add_co_ci_u32_e64 v25, s0, s3, v25, s0
	v_sub_nc_u16 v60, v77, v26
	global_load_dwordx4 v[28:31], v[24:25], off offset:1040
	v_lshlrev_b16 v24, 4, v60
	v_mad_u16 v76, 0x195, v59, v60
	v_and_b32_e32 v24, 0xffff, v24
	v_add_co_u32 v24, s0, s2, v24
	v_add_co_ci_u32_e64 v25, null, s3, 0, s0
	v_cmp_lt_u16_e64 s0, 0x86, v63
	global_load_dwordx4 v[24:27], v[24:25], off offset:1040
	s_waitcnt vmcnt(0) lgkmcnt(0)
	v_cndmask_b32_e64 v62, 0, 0x195, s0
	s_barrier
	buffer_gl0_inv
	v_add_lshl_u32 v75, v55, v62, 3
	v_mul_f32_e32 v56, v54, v29
	v_mul_f32_e32 v57, v53, v29
	;; [unrolled: 1-line block ×4, first 2 shown]
	v_fma_f32 v53, v53, v28, -v56
	v_fmac_f32_e32 v57, v54, v28
	v_fma_f32 v38, v38, v30, -v58
	v_fmac_f32_e32 v61, v39, v30
	v_add_f32_e32 v39, v34, v53
	v_add_f32_e32 v56, v35, v57
	;; [unrolled: 1-line block ×3, first 2 shown]
	v_sub_f32_e32 v55, v57, v61
	v_add_f32_e32 v57, v57, v61
	v_sub_f32_e32 v53, v53, v38
	v_add_f32_e32 v38, v39, v38
	v_fma_f32 v34, -0.5, v54, v34
	v_add_f32_e32 v39, v56, v61
	v_mul_f32_e32 v54, v37, v25
	v_mul_f32_e32 v56, v36, v25
	;; [unrolled: 1-line block ×4, first 2 shown]
	v_fmac_f32_e32 v35, -0.5, v57
	v_fma_f32 v36, v36, v24, -v54
	v_fmac_f32_e32 v56, v37, v24
	v_fma_f32 v32, v32, v26, -v58
	v_fmac_f32_e32 v61, v33, v26
	v_fmamk_f32 v58, v53, 0xbf5db3d7, v35
	v_fmac_f32_e32 v35, 0x3f5db3d7, v53
	v_add_f32_e32 v37, v51, v36
	v_add_f32_e32 v33, v36, v32
	;; [unrolled: 1-line block ×3, first 2 shown]
	v_sub_f32_e32 v62, v56, v61
	v_add_f32_e32 v54, v52, v56
	v_fmamk_f32 v57, v55, 0x3f5db3d7, v34
	v_fmac_f32_e32 v51, -0.5, v33
	v_sub_f32_e32 v33, v36, v32
	v_fmac_f32_e32 v52, -0.5, v53
	v_fmac_f32_e32 v34, 0xbf5db3d7, v55
	v_add_f32_e32 v53, v37, v32
	v_add_f32_e32 v54, v54, v61
	v_fmamk_f32 v55, v62, 0x3f5db3d7, v51
	v_fmac_f32_e32 v51, 0xbf5db3d7, v62
	v_fmamk_f32 v56, v33, 0xbf5db3d7, v52
	v_fmac_f32_e32 v52, 0x3f5db3d7, v33
	ds_write2_b64 v75, v[38:39], v[57:58] offset1:135
	ds_write_b64 v75, v[34:35] offset:2160
	s_and_saveexec_b32 s0, vcc_lo
	s_cbranch_execz .LBB0_17
; %bb.16:
	v_mov_b32_e32 v32, 3
	v_lshlrev_b32_sdwa v32, v32, v76 dst_sel:DWORD dst_unused:UNUSED_PAD src0_sel:DWORD src1_sel:WORD_0
	ds_write2_b64 v32, v[53:54], v[55:56] offset1:135
	ds_write_b64 v32, v[51:52] offset:2160
.LBB0_17:
	s_or_b32 exec_lo, exec_lo, s0
	s_waitcnt lgkmcnt(0)
	s_barrier
	buffer_gl0_inv
	ds_read_b64 v[57:58], v64
	ds_read_b64 v[61:62], v64 offset:3240
	ds_read_b64 v[59:60], v64 offset:6480
	s_and_saveexec_b32 s0, vcc_lo
	s_cbranch_execz .LBB0_19
; %bb.18:
	ds_read_b64 v[53:54], v64 offset:1944
	ds_read_b64 v[55:56], v64 offset:5184
	;; [unrolled: 1-line block ×3, first 2 shown]
.LBB0_19:
	s_or_b32 exec_lo, exec_lo, s0
	v_add_co_u32 v34, s0, 0xffffff5e, v63
	v_lshlrev_b32_e32 v32, 4, v63
	v_add_co_ci_u32_e64 v33, null, 0, -1, s0
	v_add_co_u32 v35, s0, s2, v32
	v_cndmask_b32_e32 v33, v33, v78, vcc_lo
	v_cndmask_b32_e32 v32, v34, v77, vcc_lo
	v_add_co_ci_u32_e64 v36, null, s3, 0, s0
	v_add_co_u32 v34, s0, 0x800, v35
	v_lshlrev_b64 v[32:33], 4, v[32:33]
	v_add_co_ci_u32_e64 v35, s0, 0, v36, s0
	v_add_co_u32 v32, s0, s2, v32
	global_load_dwordx4 v[36:39], v[34:35], off offset:1152
	v_add_co_ci_u32_e64 v33, s0, s3, v33, s0
	v_add_co_u32 v32, s0, 0x800, v32
	v_add_co_ci_u32_e64 v33, s0, 0, v33, s0
	global_load_dwordx4 v[32:35], v[32:33], off offset:1152
	s_waitcnt vmcnt(1) lgkmcnt(1)
	v_mul_f32_e32 v77, v62, v37
	v_mul_f32_e32 v78, v61, v37
	s_waitcnt lgkmcnt(0)
	v_mul_f32_e32 v79, v60, v39
	v_mul_f32_e32 v80, v59, v39
	v_fma_f32 v61, v61, v36, -v77
	v_fmac_f32_e32 v78, v62, v36
	v_fma_f32 v62, v59, v38, -v79
	v_fmac_f32_e32 v80, v60, v38
	v_add_f32_e32 v77, v57, v61
	s_waitcnt vmcnt(0)
	v_mul_f32_e32 v60, v55, v33
	v_add_f32_e32 v81, v61, v62
	v_sub_f32_e32 v84, v61, v62
	v_mul_f32_e32 v61, v56, v33
	v_mul_f32_e32 v85, v52, v35
	;; [unrolled: 1-line block ×3, first 2 shown]
	v_fmac_f32_e32 v60, v56, v32
	v_sub_f32_e32 v82, v78, v80
	v_fma_f32 v61, v55, v32, -v61
	v_fma_f32 v55, v51, v34, -v85
	v_fmac_f32_e32 v59, v52, v34
	v_add_f32_e32 v83, v58, v78
	v_add_f32_e32 v78, v78, v80
	v_add_f32_e32 v79, v77, v62
	v_add_f32_e32 v51, v61, v55
	v_add_f32_e32 v52, v60, v59
	v_sub_f32_e32 v62, v60, v59
	v_fmac_f32_e32 v58, -0.5, v78
	v_sub_f32_e32 v78, v61, v55
	v_fma_f32 v56, -0.5, v51, v53
	v_fma_f32 v77, -0.5, v52, v54
	;; [unrolled: 1-line block ×3, first 2 shown]
	v_add_f32_e32 v80, v83, v80
	v_fmamk_f32 v51, v62, 0xbf5db3d7, v56
	v_fmamk_f32 v52, v78, 0x3f5db3d7, v77
	;; [unrolled: 1-line block ×3, first 2 shown]
	v_fmac_f32_e32 v57, 0xbf5db3d7, v82
	v_fmamk_f32 v82, v84, 0xbf5db3d7, v58
	v_fmac_f32_e32 v58, 0x3f5db3d7, v84
	ds_write_b64 v64, v[79:80]
	ds_write_b64 v64, v[81:82] offset:3240
	ds_write_b64 v64, v[57:58] offset:6480
	s_and_saveexec_b32 s0, vcc_lo
	s_cbranch_execz .LBB0_21
; %bb.20:
	v_mul_f32_e32 v57, 0x3f5db3d7, v78
	v_add_f32_e32 v58, v54, v60
	v_add_f32_e32 v53, v53, v61
	v_mul_f32_e32 v60, 0x3f5db3d7, v62
	v_sub_f32_e32 v54, v77, v57
	v_add_f32_e32 v58, v58, v59
	v_add_f32_e32 v57, v53, v55
	;; [unrolled: 1-line block ×3, first 2 shown]
	ds_write_b64 v64, v[57:58] offset:1944
	ds_write_b64 v64, v[53:54] offset:5184
	;; [unrolled: 1-line block ×3, first 2 shown]
.LBB0_21:
	s_or_b32 exec_lo, exec_lo, s0
	v_add_co_u32 v53, s0, 0x2000, v65
	v_add_co_ci_u32_e64 v54, s0, 0, v66, s0
	v_add_co_u32 v55, s0, 0x3000, v65
	v_add_co_ci_u32_e64 v56, s0, 0, v66, s0
	;; [unrolled: 2-line block ×4, first 2 shown]
	s_waitcnt lgkmcnt(0)
	s_barrier
	buffer_gl0_inv
	s_clause 0x3
	global_load_dwordx2 v[61:62], v[53:54], off offset:1528
	global_load_dwordx2 v[77:78], v[55:56], off offset:1320
	;; [unrolled: 1-line block ×4, first 2 shown]
	v_add_co_u32 v53, s0, 0x4000, v65
	v_add_co_ci_u32_e64 v54, s0, 0, v66, s0
	global_load_dwordx2 v[65:66], v[53:54], off offset:1112
	ds_read2_b64 v[53:56], v64 offset1:243
	s_waitcnt vmcnt(4) lgkmcnt(0)
	v_mul_f32_e32 v79, v54, v62
	v_mul_f32_e32 v80, v53, v62
	s_waitcnt vmcnt(1)
	v_mul_f32_e32 v81, v56, v60
	v_mul_f32_e32 v62, v55, v60
	v_fma_f32 v79, v53, v61, -v79
	v_fmac_f32_e32 v80, v54, v61
	v_fma_f32 v61, v55, v59, -v81
	v_fmac_f32_e32 v62, v56, v59
	v_add_nc_u32_e32 v81, 0xf00, v64
	ds_write2_b64 v64, v[79:80], v[61:62] offset1:243
	ds_read2_b64 v[53:56], v81 offset0:6 offset1:249
	ds_read_b64 v[59:60], v64 offset:7776
	s_waitcnt lgkmcnt(1)
	v_mul_f32_e32 v61, v54, v78
	v_mul_f32_e32 v62, v53, v78
	;; [unrolled: 1-line block ×4, first 2 shown]
	s_waitcnt vmcnt(0) lgkmcnt(0)
	v_mul_f32_e32 v80, v60, v66
	v_mul_f32_e32 v58, v59, v66
	v_fma_f32 v61, v53, v77, -v61
	v_fmac_f32_e32 v62, v54, v77
	v_fma_f32 v77, v55, v57, -v79
	v_fmac_f32_e32 v78, v56, v57
	;; [unrolled: 2-line block ×3, first 2 shown]
	ds_write2_b64 v81, v[61:62], v[77:78] offset0:6 offset1:249
	ds_write_b64 v64, v[57:58] offset:7776
	s_waitcnt lgkmcnt(0)
	s_barrier
	buffer_gl0_inv
	ds_read2_b64 v[53:56], v64 offset1:243
	ds_read2_b64 v[57:60], v81 offset0:6 offset1:249
	ds_read_b64 v[61:62], v64 offset:7776
	s_waitcnt lgkmcnt(0)
	s_barrier
	buffer_gl0_inv
	v_add_f32_e32 v65, v53, v55
	v_add_f32_e32 v66, v57, v59
	v_sub_f32_e32 v79, v55, v57
	v_sub_f32_e32 v80, v61, v59
	v_add_f32_e32 v84, v54, v56
	v_add_f32_e32 v85, v58, v60
	v_add_f32_e32 v81, v55, v61
	v_add_f32_e32 v89, v56, v62
	v_sub_f32_e32 v77, v56, v62
	v_sub_f32_e32 v78, v58, v60
	;; [unrolled: 1-line block ×10, first 2 shown]
	v_add_f32_e32 v65, v65, v57
	v_fma_f32 v57, -0.5, v66, v53
	v_add_f32_e32 v66, v79, v80
	v_add_f32_e32 v80, v84, v58
	v_fma_f32 v58, -0.5, v85, v54
	v_fma_f32 v53, -0.5, v81, v53
	;; [unrolled: 1-line block ×3, first 2 shown]
	v_add_f32_e32 v79, v82, v83
	v_add_f32_e32 v81, v55, v88
	;; [unrolled: 1-line block ×3, first 2 shown]
	v_fmamk_f32 v55, v77, 0xbf737871, v57
	v_fmamk_f32 v56, v86, 0x3f737871, v58
	v_add_f32_e32 v65, v65, v59
	v_fmamk_f32 v59, v78, 0x3f737871, v53
	v_fmac_f32_e32 v53, 0xbf737871, v78
	v_add_f32_e32 v80, v80, v60
	v_fmamk_f32 v60, v87, 0xbf737871, v54
	v_fmac_f32_e32 v54, 0x3f737871, v87
	v_fmac_f32_e32 v57, 0x3f737871, v77
	;; [unrolled: 1-line block ×11, first 2 shown]
	v_add_f32_e32 v61, v65, v61
	v_add_f32_e32 v62, v80, v62
	v_fmac_f32_e32 v55, 0x3e9e377a, v66
	v_fmac_f32_e32 v56, 0x3e9e377a, v81
	v_fmac_f32_e32 v59, 0x3e9e377a, v79
	v_fmac_f32_e32 v53, 0x3e9e377a, v79
	v_fmac_f32_e32 v60, 0x3e9e377a, v82
	v_fmac_f32_e32 v54, 0x3e9e377a, v82
	v_fmac_f32_e32 v57, 0x3e9e377a, v66
	v_fmac_f32_e32 v58, 0x3e9e377a, v81
	ds_write2_b64 v67, v[61:62], v[55:56] offset1:1
	ds_write2_b64 v67, v[59:60], v[53:54] offset0:2 offset1:3
	ds_write_b64 v67, v[57:58] offset:32
	s_waitcnt lgkmcnt(0)
	s_barrier
	buffer_gl0_inv
	ds_read_b64 v[55:56], v64
	ds_read_b64 v[61:62], v64 offset:3240
	ds_read_b64 v[59:60], v64 offset:6480
	s_and_saveexec_b32 s0, vcc_lo
	s_cbranch_execz .LBB0_23
; %bb.22:
	ds_read_b64 v[53:54], v64 offset:1944
	ds_read_b64 v[57:58], v64 offset:5184
	;; [unrolled: 1-line block ×3, first 2 shown]
.LBB0_23:
	s_or_b32 exec_lo, exec_lo, s0
	s_waitcnt lgkmcnt(1)
	v_mul_f32_e32 v65, v5, v62
	v_mul_f32_e32 v5, v5, v61
	s_waitcnt lgkmcnt(0)
	v_mul_f32_e32 v66, v7, v60
	v_mul_f32_e32 v7, v7, v59
	v_fmac_f32_e32 v65, v4, v61
	v_fma_f32 v5, v4, v62, -v5
	v_mul_f32_e32 v61, v1, v58
	v_fmac_f32_e32 v66, v6, v59
	v_mul_f32_e32 v1, v1, v57
	v_fma_f32 v7, v6, v60, -v7
	v_mul_f32_e32 v59, v3, v52
	v_mul_f32_e32 v3, v3, v51
	v_fmac_f32_e32 v61, v0, v57
	v_fma_f32 v0, v0, v58, -v1
	v_add_f32_e32 v1, v65, v66
	v_fmac_f32_e32 v59, v2, v51
	v_fma_f32 v3, v2, v52, -v3
	v_add_f32_e32 v2, v5, v7
	v_add_f32_e32 v4, v55, v65
	v_fma_f32 v55, -0.5, v1, v55
	v_sub_f32_e32 v1, v5, v7
	v_add_f32_e32 v5, v56, v5
	v_fmac_f32_e32 v56, -0.5, v2
	v_sub_f32_e32 v2, v65, v66
	v_add_f32_e32 v51, v53, v61
	v_fmamk_f32 v6, v1, 0xbf5db3d7, v55
	v_fmac_f32_e32 v55, 0x3f5db3d7, v1
	v_add_f32_e32 v5, v5, v7
	v_add_f32_e32 v1, v61, v59
	v_fmamk_f32 v7, v2, 0x3f5db3d7, v56
	v_fmac_f32_e32 v56, 0xbf5db3d7, v2
	v_add_f32_e32 v2, v0, v3
	v_add_f32_e32 v52, v54, v0
	v_fmac_f32_e32 v53, -0.5, v1
	v_sub_f32_e32 v1, v0, v3
	v_sub_f32_e32 v57, v61, v59
	v_fmac_f32_e32 v54, -0.5, v2
	v_add_f32_e32 v4, v4, v66
	v_add_f32_e32 v0, v51, v59
	v_fmamk_f32 v2, v1, 0xbf5db3d7, v53
	v_fmac_f32_e32 v53, 0x3f5db3d7, v1
	v_add_f32_e32 v1, v52, v3
	v_fmamk_f32 v3, v57, 0x3f5db3d7, v54
	v_fmac_f32_e32 v54, 0xbf5db3d7, v57
	s_barrier
	buffer_gl0_inv
	ds_write2_b64 v70, v[4:5], v[6:7] offset1:5
	ds_write_b64 v70, v[55:56] offset:80
	s_and_saveexec_b32 s0, vcc_lo
	s_cbranch_execz .LBB0_25
; %bb.24:
	v_mad_u16 v4, v68, 15, v69
	v_mov_b32_e32 v5, 3
	v_lshlrev_b32_sdwa v4, v5, v4 dst_sel:DWORD dst_unused:UNUSED_PAD src0_sel:DWORD src1_sel:WORD_0
	ds_write2_b64 v4, v[0:1], v[2:3] offset1:5
	ds_write_b64 v4, v[53:54] offset:80
.LBB0_25:
	s_or_b32 exec_lo, exec_lo, s0
	s_waitcnt lgkmcnt(0)
	s_barrier
	buffer_gl0_inv
	ds_read_b64 v[4:5], v64
	ds_read_b64 v[51:52], v64 offset:3240
	ds_read_b64 v[6:7], v64 offset:6480
	s_and_saveexec_b32 s0, vcc_lo
	s_cbranch_execz .LBB0_27
; %bb.26:
	ds_read_b64 v[0:1], v64 offset:1944
	ds_read_b64 v[2:3], v64 offset:5184
	;; [unrolled: 1-line block ×3, first 2 shown]
.LBB0_27:
	s_or_b32 exec_lo, exec_lo, s0
	s_waitcnt lgkmcnt(1)
	v_mul_f32_e32 v55, v13, v52
	v_mul_f32_e32 v13, v13, v51
	s_waitcnt lgkmcnt(0)
	v_mul_f32_e32 v56, v15, v7
	v_mul_f32_e32 v15, v15, v6
	v_fmac_f32_e32 v55, v12, v51
	v_fma_f32 v12, v12, v52, -v13
	v_mul_f32_e32 v13, v9, v3
	v_fmac_f32_e32 v56, v14, v6
	v_mul_f32_e32 v6, v9, v2
	v_fma_f32 v7, v14, v7, -v15
	v_mul_f32_e32 v14, v11, v54
	v_fmac_f32_e32 v13, v8, v2
	v_mul_f32_e32 v2, v11, v53
	v_fma_f32 v3, v8, v3, -v6
	v_add_f32_e32 v6, v55, v56
	v_fmac_f32_e32 v14, v10, v53
	v_add_f32_e32 v8, v4, v55
	v_fma_f32 v15, v10, v54, -v2
	v_add_f32_e32 v2, v12, v7
	v_fma_f32 v4, -0.5, v6, v4
	v_sub_f32_e32 v6, v12, v7
	v_add_f32_e32 v9, v5, v12
	v_sub_f32_e32 v12, v3, v15
	v_fmac_f32_e32 v5, -0.5, v2
	v_sub_f32_e32 v2, v55, v56
	v_fmamk_f32 v10, v6, 0xbf5db3d7, v4
	v_fmac_f32_e32 v4, 0x3f5db3d7, v6
	v_add_f32_e32 v6, v13, v14
	v_add_f32_e32 v9, v9, v7
	v_fmamk_f32 v11, v2, 0x3f5db3d7, v5
	v_fmac_f32_e32 v5, 0xbf5db3d7, v2
	v_add_f32_e32 v2, v3, v15
	v_add_f32_e32 v7, v0, v13
	v_fmac_f32_e32 v0, -0.5, v6
	v_add_f32_e32 v3, v1, v3
	v_sub_f32_e32 v13, v13, v14
	v_fmac_f32_e32 v1, -0.5, v2
	v_add_f32_e32 v8, v8, v56
	v_add_f32_e32 v2, v7, v14
	v_fmamk_f32 v6, v12, 0xbf5db3d7, v0
	v_fmac_f32_e32 v0, 0x3f5db3d7, v12
	v_add_f32_e32 v3, v3, v15
	v_fmamk_f32 v7, v13, 0x3f5db3d7, v1
	v_fmac_f32_e32 v1, 0xbf5db3d7, v13
	s_barrier
	buffer_gl0_inv
	ds_write2_b64 v71, v[8:9], v[10:11] offset1:15
	ds_write_b64 v71, v[4:5] offset:240
	s_and_saveexec_b32 s0, vcc_lo
	s_cbranch_execz .LBB0_29
; %bb.28:
	v_mov_b32_e32 v4, 3
	v_lshlrev_b32_sdwa v4, v4, v72 dst_sel:DWORD dst_unused:UNUSED_PAD src0_sel:DWORD src1_sel:WORD_0
	ds_write2_b64 v4, v[2:3], v[6:7] offset1:15
	ds_write_b64 v4, v[0:1] offset:240
.LBB0_29:
	s_or_b32 exec_lo, exec_lo, s0
	s_waitcnt lgkmcnt(0)
	s_barrier
	buffer_gl0_inv
	ds_read_b64 v[4:5], v64
	ds_read_b64 v[10:11], v64 offset:3240
	ds_read_b64 v[8:9], v64 offset:6480
	s_and_saveexec_b32 s0, vcc_lo
	s_cbranch_execz .LBB0_31
; %bb.30:
	ds_read_b64 v[2:3], v64 offset:1944
	ds_read_b64 v[6:7], v64 offset:5184
	;; [unrolled: 1-line block ×3, first 2 shown]
.LBB0_31:
	s_or_b32 exec_lo, exec_lo, s0
	s_waitcnt lgkmcnt(1)
	v_mul_f32_e32 v12, v21, v11
	v_mul_f32_e32 v13, v21, v10
	s_waitcnt lgkmcnt(0)
	v_mul_f32_e32 v14, v23, v9
	v_mul_f32_e32 v15, v23, v8
	v_fmac_f32_e32 v12, v20, v10
	v_fma_f32 v10, v20, v11, -v13
	v_mul_f32_e32 v13, v17, v7
	v_fmac_f32_e32 v14, v22, v8
	v_mul_f32_e32 v8, v17, v6
	v_fma_f32 v9, v22, v9, -v15
	v_mul_f32_e32 v15, v19, v1
	v_fmac_f32_e32 v13, v16, v6
	v_mul_f32_e32 v6, v19, v0
	v_fma_f32 v8, v16, v7, -v8
	v_add_f32_e32 v7, v12, v14
	v_fmac_f32_e32 v15, v18, v0
	v_add_f32_e32 v0, v4, v12
	v_fma_f32 v1, v18, v1, -v6
	v_add_f32_e32 v11, v10, v9
	v_fma_f32 v4, -0.5, v7, v4
	v_sub_f32_e32 v7, v10, v9
	v_add_f32_e32 v6, v0, v14
	v_add_f32_e32 v0, v5, v10
	v_fmac_f32_e32 v5, -0.5, v11
	v_sub_f32_e32 v12, v12, v14
	v_fmamk_f32 v10, v7, 0xbf5db3d7, v4
	v_fmac_f32_e32 v4, 0x3f5db3d7, v7
	v_add_f32_e32 v7, v0, v9
	v_add_f32_e32 v0, v13, v15
	;; [unrolled: 1-line block ×3, first 2 shown]
	v_fmamk_f32 v11, v12, 0x3f5db3d7, v5
	v_fmac_f32_e32 v5, 0xbf5db3d7, v12
	v_add_f32_e32 v12, v2, v13
	v_fmac_f32_e32 v2, -0.5, v0
	v_sub_f32_e32 v14, v8, v1
	v_add_f32_e32 v16, v3, v8
	v_fmac_f32_e32 v3, -0.5, v9
	v_sub_f32_e32 v13, v13, v15
	v_add_f32_e32 v0, v12, v15
	v_fmamk_f32 v8, v14, 0xbf5db3d7, v2
	v_fmac_f32_e32 v2, 0x3f5db3d7, v14
	v_add_f32_e32 v1, v16, v1
	v_fmamk_f32 v9, v13, 0x3f5db3d7, v3
	v_fmac_f32_e32 v3, 0xbf5db3d7, v13
	s_barrier
	buffer_gl0_inv
	ds_write2_b64 v74, v[6:7], v[10:11] offset1:45
	ds_write_b64 v74, v[4:5] offset:720
	s_and_saveexec_b32 s0, vcc_lo
	s_cbranch_execz .LBB0_33
; %bb.32:
	v_mov_b32_e32 v4, 3
	v_lshlrev_b32_sdwa v4, v4, v73 dst_sel:DWORD dst_unused:UNUSED_PAD src0_sel:DWORD src1_sel:WORD_0
	ds_write2_b64 v4, v[0:1], v[8:9] offset1:45
	ds_write_b64 v4, v[2:3] offset:720
.LBB0_33:
	s_or_b32 exec_lo, exec_lo, s0
	s_waitcnt lgkmcnt(0)
	s_barrier
	buffer_gl0_inv
	ds_read_b64 v[6:7], v64
	ds_read_b64 v[10:11], v64 offset:3240
	ds_read_b64 v[4:5], v64 offset:6480
	s_and_saveexec_b32 s0, vcc_lo
	s_cbranch_execz .LBB0_35
; %bb.34:
	ds_read_b64 v[0:1], v64 offset:1944
	ds_read_b64 v[8:9], v64 offset:5184
	;; [unrolled: 1-line block ×3, first 2 shown]
.LBB0_35:
	s_or_b32 exec_lo, exec_lo, s0
	s_waitcnt lgkmcnt(1)
	v_mul_f32_e32 v12, v29, v11
	v_mul_f32_e32 v13, v29, v10
	s_waitcnt lgkmcnt(0)
	v_mul_f32_e32 v14, v31, v5
	v_mul_f32_e32 v15, v31, v4
	v_fmac_f32_e32 v12, v28, v10
	v_fma_f32 v10, v28, v11, -v13
	v_mul_f32_e32 v13, v25, v9
	v_fmac_f32_e32 v14, v30, v4
	v_mul_f32_e32 v4, v25, v8
	v_fma_f32 v5, v30, v5, -v15
	v_mul_f32_e32 v15, v27, v3
	v_fmac_f32_e32 v13, v24, v8
	v_mul_f32_e32 v8, v27, v2
	v_fma_f32 v4, v24, v9, -v4
	v_add_f32_e32 v9, v12, v14
	v_fmac_f32_e32 v15, v26, v2
	v_add_f32_e32 v2, v6, v12
	v_fma_f32 v3, v26, v3, -v8
	v_add_f32_e32 v11, v10, v5
	v_fma_f32 v6, -0.5, v9, v6
	v_sub_f32_e32 v9, v10, v5
	v_add_f32_e32 v8, v2, v14
	v_add_f32_e32 v2, v7, v10
	v_fmac_f32_e32 v7, -0.5, v11
	v_sub_f32_e32 v12, v12, v14
	v_fmamk_f32 v10, v9, 0xbf5db3d7, v6
	v_fmac_f32_e32 v6, 0x3f5db3d7, v9
	v_add_f32_e32 v9, v2, v5
	v_add_f32_e32 v2, v13, v15
	;; [unrolled: 1-line block ×3, first 2 shown]
	v_fmamk_f32 v11, v12, 0x3f5db3d7, v7
	v_fmac_f32_e32 v7, 0xbf5db3d7, v12
	v_add_f32_e32 v12, v0, v13
	v_fmac_f32_e32 v0, -0.5, v2
	v_sub_f32_e32 v14, v4, v3
	v_add_f32_e32 v16, v1, v4
	v_fmac_f32_e32 v1, -0.5, v5
	v_sub_f32_e32 v13, v13, v15
	v_add_f32_e32 v2, v12, v15
	v_fmamk_f32 v4, v14, 0xbf5db3d7, v0
	v_fmac_f32_e32 v0, 0x3f5db3d7, v14
	v_add_f32_e32 v3, v16, v3
	v_fmamk_f32 v5, v13, 0x3f5db3d7, v1
	v_fmac_f32_e32 v1, 0xbf5db3d7, v13
	s_barrier
	buffer_gl0_inv
	ds_write2_b64 v75, v[8:9], v[10:11] offset1:135
	ds_write_b64 v75, v[6:7] offset:2160
	s_and_saveexec_b32 s0, vcc_lo
	s_cbranch_execz .LBB0_37
; %bb.36:
	v_mov_b32_e32 v6, 3
	v_lshlrev_b32_sdwa v6, v6, v76 dst_sel:DWORD dst_unused:UNUSED_PAD src0_sel:DWORD src1_sel:WORD_0
	ds_write2_b64 v6, v[2:3], v[4:5] offset1:135
	ds_write_b64 v6, v[0:1] offset:2160
.LBB0_37:
	s_or_b32 exec_lo, exec_lo, s0
	s_waitcnt lgkmcnt(0)
	s_barrier
	buffer_gl0_inv
	ds_read_b64 v[6:7], v64
	ds_read_b64 v[8:9], v64 offset:3240
	ds_read_b64 v[10:11], v64 offset:6480
	s_and_saveexec_b32 s0, vcc_lo
	s_cbranch_execz .LBB0_39
; %bb.38:
	ds_read_b64 v[2:3], v64 offset:1944
	ds_read_b64 v[4:5], v64 offset:5184
	ds_read_b64 v[0:1], v64 offset:8424
.LBB0_39:
	s_or_b32 exec_lo, exec_lo, s0
	s_waitcnt lgkmcnt(1)
	v_mul_f32_e32 v12, v37, v9
	s_waitcnt lgkmcnt(0)
	v_mul_f32_e32 v13, v39, v11
	v_mul_f32_e32 v14, v37, v8
	;; [unrolled: 1-line block ×3, first 2 shown]
	v_fmac_f32_e32 v12, v36, v8
	v_fmac_f32_e32 v13, v38, v10
	v_fma_f32 v8, v36, v9, -v14
	v_fma_f32 v9, v38, v11, -v15
	v_add_f32_e32 v11, v6, v12
	v_add_f32_e32 v10, v12, v13
	;; [unrolled: 1-line block ×4, first 2 shown]
	v_sub_f32_e32 v15, v8, v9
	v_sub_f32_e32 v12, v12, v13
	v_fma_f32 v6, -0.5, v10, v6
	v_add_f32_e32 v8, v11, v13
	v_fmac_f32_e32 v7, -0.5, v14
	v_add_f32_e32 v9, v16, v9
	v_fmamk_f32 v10, v15, 0xbf5db3d7, v6
	v_fmac_f32_e32 v6, 0x3f5db3d7, v15
	v_fmamk_f32 v11, v12, 0x3f5db3d7, v7
	v_fmac_f32_e32 v7, 0xbf5db3d7, v12
	ds_write_b64 v64, v[8:9]
	ds_write_b64 v64, v[10:11] offset:3240
	ds_write_b64 v64, v[6:7] offset:6480
	s_and_saveexec_b32 s0, vcc_lo
	s_cbranch_execz .LBB0_41
; %bb.40:
	v_mul_f32_e32 v6, v33, v4
	v_mul_f32_e32 v7, v35, v0
	;; [unrolled: 1-line block ×4, first 2 shown]
	v_fma_f32 v5, v32, v5, -v6
	v_fma_f32 v6, v34, v1, -v7
	v_fmac_f32_e32 v8, v32, v4
	v_fmac_f32_e32 v9, v34, v0
	v_add_f32_e32 v10, v3, v5
	v_add_f32_e32 v0, v5, v6
	v_sub_f32_e32 v11, v5, v6
	v_add_f32_e32 v7, v8, v9
	v_sub_f32_e32 v4, v8, v9
	v_add_f32_e32 v8, v2, v8
	v_fma_f32 v1, -0.5, v0, v3
	v_add_f32_e32 v3, v10, v6
	v_fma_f32 v0, -0.5, v7, v2
	v_add_f32_e32 v2, v8, v9
	v_fmamk_f32 v5, v4, 0xbf5db3d7, v1
	v_fmac_f32_e32 v1, 0x3f5db3d7, v4
	v_fmamk_f32 v4, v11, 0x3f5db3d7, v0
	v_fmac_f32_e32 v0, 0xbf5db3d7, v11
	ds_write_b64 v64, v[2:3] offset:1944
	ds_write_b64 v64, v[0:1] offset:5184
	ds_write_b64 v64, v[4:5] offset:8424
.LBB0_41:
	s_or_b32 exec_lo, exec_lo, s0
	v_add_nc_u32_e32 v4, 0xf00, v64
	s_waitcnt lgkmcnt(0)
	s_barrier
	buffer_gl0_inv
	ds_read2_b64 v[0:3], v64 offset1:243
	ds_read2_b64 v[4:7], v4 offset0:6 offset1:249
	ds_read_b64 v[8:9], v64 offset:7776
	v_mad_u64_u32 v[10:11], null, s10, v40, 0
	v_mad_u64_u32 v[12:13], null, s8, v63, 0
	s_mov_b32 s0, 0x40e53dbc
	s_mov_b32 s1, 0x3f4af834
	s_mul_i32 s2, s9, 0x798
	v_mad_u64_u32 v[14:15], null, s11, v40, v[11:12]
	s_waitcnt lgkmcnt(2)
	v_mul_f32_e32 v11, v42, v1
	s_waitcnt lgkmcnt(1)
	v_mul_f32_e32 v20, v46, v5
	v_mul_f32_e32 v15, v42, v0
	;; [unrolled: 1-line block ×4, first 2 shown]
	v_fmac_f32_e32 v11, v41, v0
	v_mul_f32_e32 v22, v46, v4
	v_mul_f32_e32 v23, v48, v7
	;; [unrolled: 1-line block ×3, first 2 shown]
	v_fmac_f32_e32 v20, v45, v4
	s_waitcnt lgkmcnt(0)
	v_mul_f32_e32 v21, v50, v9
	v_mul_f32_e32 v19, v50, v8
	v_fma_f32 v15, v41, v1, -v15
	v_fmac_f32_e32 v16, v43, v2
	v_fma_f32 v17, v43, v3, -v17
	v_cvt_f64_f32_e32 v[0:1], v11
	v_fma_f32 v11, v45, v5, -v22
	v_cvt_f64_f32_e32 v[4:5], v20
	v_fmac_f32_e32 v23, v47, v6
	v_fma_f32 v20, v47, v7, -v24
	v_fmac_f32_e32 v21, v49, v8
	v_fma_f32 v24, v49, v9, -v19
	v_cvt_f64_f32_e32 v[2:3], v15
	v_cvt_f64_f32_e32 v[15:16], v16
	;; [unrolled: 1-line block ×8, first 2 shown]
	v_mad_u64_u32 v[25:26], null, s9, v63, v[13:14]
	v_mov_b32_e32 v11, v14
	v_mul_f64 v[0:1], v[0:1], s[0:1]
	v_mov_b32_e32 v13, v25
	v_mul_f64 v[4:5], v[4:5], s[0:1]
	v_lshlrev_b64 v[10:11], 3, v[10:11]
	v_lshlrev_b64 v[12:13], 3, v[12:13]
	v_mul_f64 v[2:3], v[2:3], s[0:1]
	v_mul_f64 v[14:15], v[15:16], s[0:1]
	;; [unrolled: 1-line block ×8, first 2 shown]
	v_add_co_u32 v10, vcc_lo, s4, v10
	v_add_co_ci_u32_e32 v11, vcc_lo, s5, v11, vcc_lo
	s_mul_hi_u32 s0, s8, 0x798
	v_add_co_u32 v10, vcc_lo, v10, v12
	v_cvt_f32_f64_e32 v0, v[0:1]
	v_add_co_ci_u32_e32 v11, vcc_lo, v11, v13, vcc_lo
	s_mul_i32 s1, s8, 0x798
	v_cvt_f32_f64_e32 v4, v[4:5]
	s_add_i32 s0, s0, s2
	v_add_co_u32 v12, vcc_lo, v10, s1
	v_cvt_f32_f64_e32 v1, v[2:3]
	v_cvt_f32_f64_e32 v2, v[14:15]
	v_cvt_f32_f64_e32 v3, v[16:17]
	v_cvt_f32_f64_e32 v5, v[6:7]
	v_cvt_f32_f64_e32 v6, v[8:9]
	v_cvt_f32_f64_e32 v7, v[18:19]
	v_cvt_f32_f64_e32 v8, v[20:21]
	v_cvt_f32_f64_e32 v9, v[22:23]
	v_add_co_ci_u32_e32 v13, vcc_lo, s0, v11, vcc_lo
	v_add_co_u32 v14, vcc_lo, v12, s1
	v_add_co_ci_u32_e32 v15, vcc_lo, s0, v13, vcc_lo
	v_add_co_u32 v16, vcc_lo, v14, s1
	;; [unrolled: 2-line block ×3, first 2 shown]
	v_add_co_ci_u32_e32 v19, vcc_lo, s0, v17, vcc_lo
	global_store_dwordx2 v[10:11], v[0:1], off
	global_store_dwordx2 v[12:13], v[2:3], off
	;; [unrolled: 1-line block ×5, first 2 shown]
.LBB0_42:
	s_endpgm
	.section	.rodata,"a",@progbits
	.p2align	6, 0x0
	.amdhsa_kernel bluestein_single_back_len1215_dim1_sp_op_CI_CI
		.amdhsa_group_segment_fixed_size 9720
		.amdhsa_private_segment_fixed_size 0
		.amdhsa_kernarg_size 104
		.amdhsa_user_sgpr_count 6
		.amdhsa_user_sgpr_private_segment_buffer 1
		.amdhsa_user_sgpr_dispatch_ptr 0
		.amdhsa_user_sgpr_queue_ptr 0
		.amdhsa_user_sgpr_kernarg_segment_ptr 1
		.amdhsa_user_sgpr_dispatch_id 0
		.amdhsa_user_sgpr_flat_scratch_init 0
		.amdhsa_user_sgpr_private_segment_size 0
		.amdhsa_wavefront_size32 1
		.amdhsa_uses_dynamic_stack 0
		.amdhsa_system_sgpr_private_segment_wavefront_offset 0
		.amdhsa_system_sgpr_workgroup_id_x 1
		.amdhsa_system_sgpr_workgroup_id_y 0
		.amdhsa_system_sgpr_workgroup_id_z 0
		.amdhsa_system_sgpr_workgroup_info 0
		.amdhsa_system_vgpr_workitem_id 0
		.amdhsa_next_free_vgpr 91
		.amdhsa_next_free_sgpr 20
		.amdhsa_reserve_vcc 1
		.amdhsa_reserve_flat_scratch 0
		.amdhsa_float_round_mode_32 0
		.amdhsa_float_round_mode_16_64 0
		.amdhsa_float_denorm_mode_32 3
		.amdhsa_float_denorm_mode_16_64 3
		.amdhsa_dx10_clamp 1
		.amdhsa_ieee_mode 1
		.amdhsa_fp16_overflow 0
		.amdhsa_workgroup_processor_mode 1
		.amdhsa_memory_ordered 1
		.amdhsa_forward_progress 0
		.amdhsa_shared_vgpr_count 0
		.amdhsa_exception_fp_ieee_invalid_op 0
		.amdhsa_exception_fp_denorm_src 0
		.amdhsa_exception_fp_ieee_div_zero 0
		.amdhsa_exception_fp_ieee_overflow 0
		.amdhsa_exception_fp_ieee_underflow 0
		.amdhsa_exception_fp_ieee_inexact 0
		.amdhsa_exception_int_div_zero 0
	.end_amdhsa_kernel
	.text
.Lfunc_end0:
	.size	bluestein_single_back_len1215_dim1_sp_op_CI_CI, .Lfunc_end0-bluestein_single_back_len1215_dim1_sp_op_CI_CI
                                        ; -- End function
	.section	.AMDGPU.csdata,"",@progbits
; Kernel info:
; codeLenInByte = 7004
; NumSgprs: 22
; NumVgprs: 91
; ScratchSize: 0
; MemoryBound: 0
; FloatMode: 240
; IeeeMode: 1
; LDSByteSize: 9720 bytes/workgroup (compile time only)
; SGPRBlocks: 2
; VGPRBlocks: 11
; NumSGPRsForWavesPerEU: 22
; NumVGPRsForWavesPerEU: 91
; Occupancy: 10
; WaveLimiterHint : 1
; COMPUTE_PGM_RSRC2:SCRATCH_EN: 0
; COMPUTE_PGM_RSRC2:USER_SGPR: 6
; COMPUTE_PGM_RSRC2:TRAP_HANDLER: 0
; COMPUTE_PGM_RSRC2:TGID_X_EN: 1
; COMPUTE_PGM_RSRC2:TGID_Y_EN: 0
; COMPUTE_PGM_RSRC2:TGID_Z_EN: 0
; COMPUTE_PGM_RSRC2:TIDIG_COMP_CNT: 0
	.text
	.p2alignl 6, 3214868480
	.fill 48, 4, 3214868480
	.type	__hip_cuid_c23c760522c0a936,@object ; @__hip_cuid_c23c760522c0a936
	.section	.bss,"aw",@nobits
	.globl	__hip_cuid_c23c760522c0a936
__hip_cuid_c23c760522c0a936:
	.byte	0                               ; 0x0
	.size	__hip_cuid_c23c760522c0a936, 1

	.ident	"AMD clang version 19.0.0git (https://github.com/RadeonOpenCompute/llvm-project roc-6.4.0 25133 c7fe45cf4b819c5991fe208aaa96edf142730f1d)"
	.section	".note.GNU-stack","",@progbits
	.addrsig
	.addrsig_sym __hip_cuid_c23c760522c0a936
	.amdgpu_metadata
---
amdhsa.kernels:
  - .args:
      - .actual_access:  read_only
        .address_space:  global
        .offset:         0
        .size:           8
        .value_kind:     global_buffer
      - .actual_access:  read_only
        .address_space:  global
        .offset:         8
        .size:           8
        .value_kind:     global_buffer
      - .actual_access:  read_only
        .address_space:  global
        .offset:         16
        .size:           8
        .value_kind:     global_buffer
      - .actual_access:  read_only
        .address_space:  global
        .offset:         24
        .size:           8
        .value_kind:     global_buffer
      - .actual_access:  read_only
        .address_space:  global
        .offset:         32
        .size:           8
        .value_kind:     global_buffer
      - .offset:         40
        .size:           8
        .value_kind:     by_value
      - .address_space:  global
        .offset:         48
        .size:           8
        .value_kind:     global_buffer
      - .address_space:  global
        .offset:         56
        .size:           8
        .value_kind:     global_buffer
      - .address_space:  global
        .offset:         64
        .size:           8
        .value_kind:     global_buffer
      - .address_space:  global
        .offset:         72
        .size:           8
        .value_kind:     global_buffer
      - .offset:         80
        .size:           4
        .value_kind:     by_value
      - .address_space:  global
        .offset:         88
        .size:           8
        .value_kind:     global_buffer
      - .address_space:  global
        .offset:         96
        .size:           8
        .value_kind:     global_buffer
    .group_segment_fixed_size: 9720
    .kernarg_segment_align: 8
    .kernarg_segment_size: 104
    .language:       OpenCL C
    .language_version:
      - 2
      - 0
    .max_flat_workgroup_size: 243
    .name:           bluestein_single_back_len1215_dim1_sp_op_CI_CI
    .private_segment_fixed_size: 0
    .sgpr_count:     22
    .sgpr_spill_count: 0
    .symbol:         bluestein_single_back_len1215_dim1_sp_op_CI_CI.kd
    .uniform_work_group_size: 1
    .uses_dynamic_stack: false
    .vgpr_count:     91
    .vgpr_spill_count: 0
    .wavefront_size: 32
    .workgroup_processor_mode: 1
amdhsa.target:   amdgcn-amd-amdhsa--gfx1030
amdhsa.version:
  - 1
  - 2
...

	.end_amdgpu_metadata
